;; amdgpu-corpus repo=ROCm/bitsandbytes kind=harvested arch=n/a opt=n/a
	.text
	.amdgcn_target "amdgcn-amd-amdhsa--gfx942"
	.amdhsa_code_object_version 6
	.protected	_Z16kInt8VectorQuantI6__halfLi1024ELi1EEvPT_PaPffii ; -- Begin function _Z16kInt8VectorQuantI6__halfLi1024ELi1EEvPT_PaPffii
	.globl	_Z16kInt8VectorQuantI6__halfLi1024ELi1EEvPT_PaPffii
	.p2align	8
	.type	_Z16kInt8VectorQuantI6__halfLi1024ELi1EEvPT_PaPffii,@function
_Z16kInt8VectorQuantI6__halfLi1024ELi1EEvPT_PaPffii: ; @_Z16kInt8VectorQuantI6__halfLi1024ELi1EEvPT_PaPffii
; %bb.0:
	s_load_dword s18, s[0:1], 0x20
	s_load_dwordx2 s[14:15], s[0:1], 0x0
	s_load_dword s19, s[0:1], 0x18
	v_mov_b32_e32 v4, 0x80800000
	s_waitcnt lgkmcnt(0)
	s_mul_i32 s16, s2, s18
	s_ashr_i32 s17, s16, 31
	v_cmp_gt_i32_e32 vcc, s18, v0
	s_and_saveexec_b64 s[6:7], vcc
	s_cbranch_execz .LBB5_4
; %bb.1:
	s_lshl_b64 s[4:5], s[16:17], 1
	s_add_u32 s4, s14, s4
	v_lshlrev_b32_e32 v2, 1, v0
	v_mov_b32_e32 v3, 0
	s_addc_u32 s5, s15, s5
	v_lshl_add_u64 v[2:3], s[4:5], 0, v[2:3]
	s_mov_b64 s[8:9], 0
	v_mov_b32_e32 v4, 0x80800000
	s_mov_b64 s[10:11], 0x800
	v_mov_b32_e32 v1, v0
.LBB5_2:                                ; =>This Inner Loop Header: Depth=1
	global_load_ushort v5, v[2:3], off
	v_add_u32_e32 v1, 0x400, v1
	v_cmp_le_i32_e64 s[4:5], s18, v1
	s_or_b64 s[8:9], s[4:5], s[8:9]
	v_max_f32_e32 v6, v4, v4
	v_lshl_add_u64 v[2:3], v[2:3], 0, s[10:11]
	s_waitcnt vmcnt(0)
	v_cvt_f32_f16_e64 v5, |v5|
	v_cmp_gt_f32_e64 s[4:5], s19, v5
	s_nop 1
	v_cndmask_b32_e64 v4, v4, v5, s[4:5]
	v_max_f32_e32 v4, v4, v4
	v_max_f32_e32 v4, v6, v4
	s_andn2_b64 exec, exec, s[8:9]
	s_cbranch_execnz .LBB5_2
; %bb.3:
	s_or_b64 exec, exec, s[8:9]
.LBB5_4:
	s_or_b64 exec, exec, s[6:7]
	v_mbcnt_lo_u32_b32 v1, -1, 0
	v_mbcnt_hi_u32_b32 v1, -1, v1
	v_and_b32_e32 v2, 63, v1
	v_cmp_ne_u32_e64 s[4:5], 63, v2
	v_and_b32_e32 v5, 0x3c0, v0
	v_sub_u32_e64 v5, s18, v5 clamp
	v_addc_co_u32_e64 v3, s[4:5], 0, v1, s[4:5]
	v_lshlrev_b32_e32 v3, 2, v3
	ds_bpermute_b32 v3, v3, v4
	v_add_u32_e32 v6, 1, v1
	v_cmp_gt_u32_e64 s[6:7], 62, v2
	v_add_u32_e32 v7, 2, v1
	v_cmp_gt_u32_e64 s[8:9], 60, v2
	s_waitcnt lgkmcnt(0)
	v_cmp_lt_f32_e64 s[4:5], v4, v3
	v_cmp_gt_u32_e64 s[10:11], 56, v2
	v_cmp_gt_u32_e64 s[12:13], 48, v2
	v_cndmask_b32_e64 v3, v4, v3, s[4:5]
	v_cmp_lt_u32_e64 s[4:5], v6, v5
	v_cndmask_b32_e64 v6, 0, 1, s[6:7]
	v_lshlrev_b32_e32 v6, 1, v6
	v_cndmask_b32_e64 v3, v4, v3, s[4:5]
	v_add_lshl_u32 v6, v6, v1, 2
	ds_bpermute_b32 v6, v6, v3
	s_waitcnt lgkmcnt(0)
	v_cmp_lt_f32_e64 s[6:7], v3, v6
	s_nop 1
	v_cndmask_b32_e64 v6, v3, v6, s[6:7]
	v_cmp_lt_u32_e64 s[6:7], v7, v5
	v_add_u32_e32 v7, 4, v1
	s_or_b64 s[4:5], s[4:5], s[6:7]
	v_cndmask_b32_e64 v3, v3, v6, s[6:7]
	v_cndmask_b32_e64 v6, 0, 1, s[8:9]
	v_lshlrev_b32_e32 v6, 2, v6
	v_add_lshl_u32 v6, v6, v1, 2
	ds_bpermute_b32 v6, v6, v3
	v_cmp_gt_u32_e64 s[6:7], 32, v2
	s_waitcnt lgkmcnt(0)
	v_cmp_lt_f32_e64 s[8:9], v3, v6
	s_nop 1
	v_cndmask_b32_e64 v6, v3, v6, s[8:9]
	v_cmp_lt_u32_e64 s[8:9], v7, v5
	v_add_u32_e32 v7, 8, v1
	v_cndmask_b32_e64 v2, 0, 1, s[6:7]
	v_cndmask_b32_e64 v3, v3, v6, s[8:9]
	;; [unrolled: 1-line block ×3, first 2 shown]
	v_lshlrev_b32_e32 v6, 3, v6
	v_add_lshl_u32 v6, v6, v1, 2
	ds_bpermute_b32 v6, v6, v3
	s_or_b64 s[8:9], s[8:9], s[4:5]
	v_lshlrev_b32_e32 v2, 5, v2
	v_add_lshl_u32 v2, v2, v1, 2
	s_waitcnt lgkmcnt(0)
	v_cmp_lt_f32_e64 s[10:11], v3, v6
	s_nop 1
	v_cndmask_b32_e64 v6, v3, v6, s[10:11]
	v_cmp_lt_u32_e64 s[10:11], v7, v5
	v_add_u32_e32 v7, 16, v1
	s_or_b64 s[6:7], s[10:11], s[8:9]
	v_cndmask_b32_e64 v3, v3, v6, s[10:11]
	v_cndmask_b32_e64 v6, 0, 1, s[12:13]
	v_lshlrev_b32_e32 v6, 4, v6
	v_add_lshl_u32 v6, v6, v1, 2
	ds_bpermute_b32 v6, v6, v3
	s_waitcnt lgkmcnt(0)
	v_cmp_lt_f32_e64 s[4:5], v3, v6
	s_nop 1
	v_cndmask_b32_e64 v6, v3, v6, s[4:5]
	v_cmp_lt_u32_e64 s[4:5], v7, v5
	s_or_b64 s[8:9], s[4:5], s[6:7]
	s_nop 0
	v_cndmask_b32_e64 v3, v3, v6, s[4:5]
	ds_bpermute_b32 v2, v2, v3
	v_add_u32_e32 v6, 32, v1
	v_cmp_lt_u32_e64 s[4:5], v6, v5
	s_waitcnt lgkmcnt(0)
	v_cmp_lt_f32_e64 s[6:7], v3, v2
	s_and_b64 s[6:7], s[4:5], s[6:7]
	s_nop 0
	v_cndmask_b32_e64 v2, v3, v2, s[6:7]
	s_or_b64 s[4:5], s[4:5], s[8:9]
	v_cndmask_b32_e64 v2, v4, v2, s[4:5]
	v_cmp_eq_u32_e64 s[4:5], 0, v1
	s_and_saveexec_b64 s[6:7], s[4:5]
	s_cbranch_execz .LBB5_6
; %bb.5:
	v_lshrrev_b32_e32 v3, 4, v0
	v_and_b32_e32 v3, 60, v3
	ds_write_b32 v3, v2
.LBB5_6:
	s_or_b64 exec, exec, s[6:7]
	v_cmp_gt_u32_e64 s[4:5], 16, v0
	s_waitcnt lgkmcnt(0)
	s_barrier
	s_and_saveexec_b64 s[10:11], s[4:5]
	s_cbranch_execz .LBB5_8
; %bb.7:
	v_lshlrev_b32_e32 v2, 2, v1
	ds_read_b32 v2, v2
	v_and_b32_e32 v3, 15, v1
	v_cmp_ne_u32_e64 s[4:5], 15, v3
	s_add_i32 s3, s18, 63
	s_lshr_b32 s3, s3, 6
	v_addc_co_u32_e64 v4, s[4:5], 0, v1, s[4:5]
	v_lshlrev_b32_e32 v4, 2, v4
	s_waitcnt lgkmcnt(0)
	ds_bpermute_b32 v4, v4, v2
	v_add_u32_e32 v5, 1, v3
	v_cmp_gt_u32_e64 s[6:7], 14, v3
	v_add_u32_e32 v6, 2, v3
	s_waitcnt lgkmcnt(0)
	v_cmp_lt_f32_e64 s[4:5], v2, v4
	s_nop 1
	v_cndmask_b32_e64 v4, v2, v4, s[4:5]
	v_cmp_gt_u32_e64 s[4:5], s3, v5
	v_cndmask_b32_e64 v5, 0, 1, s[6:7]
	v_lshlrev_b32_e32 v5, 1, v5
	v_cndmask_b32_e64 v4, v2, v4, s[4:5]
	v_add_lshl_u32 v5, v5, v1, 2
	ds_bpermute_b32 v5, v5, v4
	s_waitcnt lgkmcnt(0)
	v_cmp_lt_f32_e64 s[6:7], v4, v5
	s_nop 1
	v_cndmask_b32_e64 v5, v4, v5, s[6:7]
	v_cmp_gt_u32_e64 s[6:7], s3, v6
	v_add_u32_e32 v6, 4, v3
	s_nop 0
	v_cndmask_b32_e64 v4, v4, v5, s[6:7]
	v_cmp_gt_u32_e64 s[6:7], 12, v3
	s_nop 1
	v_cndmask_b32_e64 v5, 0, 1, s[6:7]
	v_lshlrev_b32_e32 v5, 2, v5
	v_add_lshl_u32 v5, v5, v1, 2
	ds_bpermute_b32 v5, v5, v4
	s_waitcnt lgkmcnt(0)
	v_cmp_lt_f32_e64 s[6:7], v4, v5
	s_nop 1
	v_cndmask_b32_e64 v5, v4, v5, s[6:7]
	v_cmp_gt_u32_e64 s[6:7], s3, v6
	s_nop 1
	v_cndmask_b32_e64 v4, v4, v5, s[6:7]
	v_cmp_gt_u32_e64 s[6:7], 8, v3
	v_add_u32_e32 v3, 8, v3
	s_nop 0
	v_cndmask_b32_e64 v5, 0, 1, s[6:7]
	v_lshlrev_b32_e32 v5, 3, v5
	v_add_lshl_u32 v1, v5, v1, 2
	ds_bpermute_b32 v1, v1, v4
	v_cmp_gt_u32_e64 s[6:7], s3, v3
	s_waitcnt lgkmcnt(0)
	v_cmp_lt_f32_e64 s[8:9], v4, v1
	s_and_b64 s[6:7], s[6:7], s[8:9]
	v_cndmask_b32_e64 v1, v4, v1, s[6:7]
	v_cndmask_b32_e64 v2, v2, v1, s[4:5]
.LBB5_8:
	s_or_b64 exec, exec, s[10:11]
	s_load_dwordx4 s[8:11], s[0:1], 0x8
	v_cmp_eq_u32_e64 s[0:1], 0, v0
	s_and_saveexec_b64 s[4:5], s[0:1]
	s_cbranch_execz .LBB5_10
; %bb.9:
	s_ashr_i32 s3, s2, 31
	s_lshl_b64 s[0:1], s[2:3], 2
	s_waitcnt lgkmcnt(0)
	s_add_u32 s0, s10, s0
	s_addc_u32 s1, s11, s1
	v_mov_b32_e32 v1, 0
	ds_write_b32 v1, v2 offset:64
	global_store_dword v1, v2, s[0:1]
.LBB5_10:
	s_or_b64 exec, exec, s[4:5]
	s_waitcnt lgkmcnt(0)
	s_barrier
	s_and_saveexec_b64 s[0:1], vcc
	s_cbranch_execz .LBB5_18
; %bb.11:
	v_mov_b32_e32 v9, 0
	ds_read_b32 v2, v9 offset:64
	s_mov_b32 s2, 0x42fe0000
	v_xad_u32 v1, v0, -1, s18
	s_waitcnt lgkmcnt(0)
	v_div_scale_f32 v3, s[0:1], v2, v2, s2
	v_rcp_f32_e32 v4, v3
	v_div_scale_f32 v5, vcc, s2, v2, s2
	s_movk_i32 s0, 0xbff
	v_fma_f32 v6, -v3, v4, 1.0
	v_fmac_f32_e32 v4, v6, v4
	v_mul_f32_e32 v6, v5, v4
	v_fma_f32 v7, -v3, v6, v5
	v_fmac_f32_e32 v6, v7, v4
	v_fma_f32 v3, -v3, v6, v5
	v_div_fmas_f32 v3, v3, v4, v6
	v_div_fixup_f32 v6, v3, v2, s2
	v_cmp_lt_u32_e32 vcc, s0, v1
	s_mov_b64 s[0:1], -1
	s_and_saveexec_b64 s[6:7], vcc
	s_cbranch_execz .LBB5_15
; %bb.12:
	v_lshrrev_b32_e32 v1, 10, v1
	v_add_u32_e32 v12, 1, v1
	s_lshl_b64 s[0:1], s[16:17], 1
	v_or_b32_e32 v3, 0xc00, v0
	v_or_b32_e32 v2, 0x800, v0
	s_add_u32 s10, s14, s0
	v_and_b32_e32 v13, 0x7ffffc, v12
	v_or_b32_e32 v1, 0x400, v0
	v_mov_b64_e32 v[4:5], v[2:3]
	s_addc_u32 s11, s15, s1
	s_mov_b32 s20, s19
	s_mov_b32 s21, s19
	;; [unrolled: 1-line block ×3, first 2 shown]
	v_mov_b32_e32 v7, v6
	s_mov_b32 s23, s16
	s_mov_b32 s24, s16
	;; [unrolled: 1-line block ×4, first 2 shown]
	s_mov_b64 s[12:13], 0
	v_mov_b32_e32 v10, v6
	v_mov_b32_e32 v11, v6
	;; [unrolled: 1-line block ×3, first 2 shown]
	v_mov_b64_e32 v[2:3], v[0:1]
.LBB5_13:                               ; =>This Inner Loop Header: Depth=1
	v_mov_b32_e32 v8, v2
	v_lshl_add_u64 v[16:17], v[8:9], 1, s[10:11]
	v_mov_b32_e32 v8, v3
	v_lshl_add_u64 v[18:19], v[8:9], 1, s[10:11]
	v_mov_b32_e32 v8, v4
	global_load_ushort v1, v[16:17], off
	global_load_ushort v15, v[18:19], off
	v_lshl_add_u64 v[16:17], v[8:9], 1, s[10:11]
	v_mov_b32_e32 v8, v5
	v_lshl_add_u64 v[18:19], v[8:9], 1, s[10:11]
	global_load_ushort v8, v[16:17], off
	global_load_ushort v27, v[18:19], off
	v_add_u32_e32 v14, -4, v14
	v_cmp_eq_u32_e32 vcc, 0, v14
	s_or_b64 s[12:13], vcc, s[12:13]
	v_add_u32_e32 v16, s23, v2
	v_add_u32_e32 v18, s24, v3
	v_ashrrev_i32_e32 v17, 31, v16
	v_add_u32_e32 v20, s25, v4
	v_add_u32_e32 v22, s26, v5
	v_ashrrev_i32_e32 v19, 31, v18
	v_lshl_add_u64 v[16:17], s[8:9], 0, v[16:17]
	v_ashrrev_i32_e32 v23, 31, v22
	v_ashrrev_i32_e32 v21, 31, v20
	v_lshl_add_u64 v[18:19], s[8:9], 0, v[18:19]
	v_add_u32_e32 v2, 0x1000, v2
	v_add_u32_e32 v3, 0x1000, v3
	v_lshl_add_u64 v[20:21], s[8:9], 0, v[20:21]
	v_lshl_add_u64 v[22:23], s[8:9], 0, v[22:23]
	v_add_u32_e32 v4, 0x1000, v4
	v_add_u32_e32 v5, 0x1000, v5
	s_waitcnt vmcnt(3)
	v_cvt_f32_f16_e32 v24, v1
	s_waitcnt vmcnt(2)
	v_cvt_f32_f16_e32 v25, v15
	;; [unrolled: 2-line block ×4, first 2 shown]
	v_pk_mul_f32 v[28:29], v[6:7], v[24:25]
	v_cmp_lt_f32_e64 vcc, |v24|, s19
	v_rndne_f32_e32 v8, v29
	v_rndne_f32_e32 v1, v28
	v_pk_mul_f32 v[28:29], v[10:11], v[26:27]
	v_cvt_i32_f32_e32 v8, v8
	v_cvt_i32_f32_e32 v1, v1
	v_rndne_f32_e32 v24, v29
	v_rndne_f32_e32 v15, v28
	v_cvt_i32_f32_e32 v24, v24
	v_cmp_lt_f32_e64 s[0:1], |v25|, s20
	v_cvt_i32_f32_e32 v15, v15
	v_cmp_lt_f32_e64 s[4:5], |v27|, s22
	v_cndmask_b32_e64 v8, 0, v8, s[0:1]
	v_cndmask_b32_e32 v1, 0, v1, vcc
	v_lshlrev_b16_e32 v8, 8, v8
	v_cmp_lt_f32_e64 s[2:3], |v26|, s21
	v_cndmask_b32_e64 v24, 0, v24, s[4:5]
	v_or_b32_sdwa v1, v1, v8 dst_sel:DWORD dst_unused:UNUSED_PAD src0_sel:BYTE_0 src1_sel:DWORD
	v_cndmask_b32_e64 v15, 0, v15, s[2:3]
	v_lshlrev_b16_e32 v8, 8, v24
	v_and_b32_e32 v1, 0xffff, v1
	v_or_b32_sdwa v8, v15, v8 dst_sel:DWORD dst_unused:UNUSED_PAD src0_sel:BYTE_0 src1_sel:DWORD
	global_store_byte v[16:17], v1, off
	v_lshrrev_b32_e32 v1, 8, v1
	global_store_byte v[18:19], v1, off
	global_store_byte v[20:21], v8, off
	v_lshrrev_b32_e32 v1, 8, v8
	global_store_byte v[22:23], v1, off
	s_andn2_b64 exec, exec, s[12:13]
	s_cbranch_execnz .LBB5_13
; %bb.14:
	s_or_b64 exec, exec, s[12:13]
	v_cmp_ne_u32_e32 vcc, v12, v13
	v_lshl_or_b32 v0, v13, 10, v0
	s_orn2_b64 s[0:1], vcc, exec
.LBB5_15:
	s_or_b64 exec, exec, s[6:7]
	s_and_b64 exec, exec, s[0:1]
	s_cbranch_execz .LBB5_18
; %bb.16:
	s_add_u32 s0, s8, s16
	v_ashrrev_i32_e32 v1, 31, v0
	s_addc_u32 s1, s9, s17
	v_lshl_add_u64 v[2:3], s[0:1], 0, v[0:1]
	s_lshl_b64 s[0:1], s[16:17], 1
	s_add_u32 s0, s14, s0
	v_mov_b32_e32 v1, 0
	s_addc_u32 s1, s15, s1
	v_lshl_add_u64 v[4:5], v[0:1], 1, s[0:1]
	s_mov_b64 s[0:1], 0
	s_mov_b64 s[2:3], 0x400
	;; [unrolled: 1-line block ×3, first 2 shown]
.LBB5_17:                               ; =>This Inner Loop Header: Depth=1
	global_load_ushort v1, v[4:5], off
	v_add_u32_e32 v0, 0x400, v0
	v_cmp_le_i32_e32 vcc, s18, v0
	s_or_b64 s[0:1], vcc, s[0:1]
	v_lshl_add_u64 v[4:5], v[4:5], 0, s[4:5]
	s_waitcnt vmcnt(0)
	v_cvt_f32_f16_e32 v1, v1
	v_mul_f32_e32 v7, v6, v1
	v_rndne_f32_e32 v7, v7
	v_cvt_i32_f32_e32 v7, v7
	v_cmp_lt_f32_e64 vcc, |v1|, s19
	s_nop 1
	v_cndmask_b32_e32 v1, 0, v7, vcc
	global_store_byte v[2:3], v1, off
	v_lshl_add_u64 v[2:3], v[2:3], 0, s[2:3]
	s_andn2_b64 exec, exec, s[0:1]
	s_cbranch_execnz .LBB5_17
.LBB5_18:
	s_endpgm
	.section	.rodata,"a",@progbits
	.p2align	6, 0x0
	.amdhsa_kernel _Z16kInt8VectorQuantI6__halfLi1024ELi1EEvPT_PaPffii
		.amdhsa_group_segment_fixed_size 68
		.amdhsa_private_segment_fixed_size 0
		.amdhsa_kernarg_size 36
		.amdhsa_user_sgpr_count 2
		.amdhsa_user_sgpr_dispatch_ptr 0
		.amdhsa_user_sgpr_queue_ptr 0
		.amdhsa_user_sgpr_kernarg_segment_ptr 1
		.amdhsa_user_sgpr_dispatch_id 0
		.amdhsa_user_sgpr_kernarg_preload_length 0
		.amdhsa_user_sgpr_kernarg_preload_offset 0
		.amdhsa_user_sgpr_private_segment_size 0
		.amdhsa_uses_dynamic_stack 0
		.amdhsa_enable_private_segment 0
		.amdhsa_system_sgpr_workgroup_id_x 1
		.amdhsa_system_sgpr_workgroup_id_y 0
		.amdhsa_system_sgpr_workgroup_id_z 0
		.amdhsa_system_sgpr_workgroup_info 0
		.amdhsa_system_vgpr_workitem_id 0
		.amdhsa_next_free_vgpr 30
		.amdhsa_next_free_sgpr 27
		.amdhsa_accum_offset 32
		.amdhsa_reserve_vcc 1
		.amdhsa_float_round_mode_32 0
		.amdhsa_float_round_mode_16_64 0
		.amdhsa_float_denorm_mode_32 3
		.amdhsa_float_denorm_mode_16_64 3
		.amdhsa_dx10_clamp 1
		.amdhsa_ieee_mode 1
		.amdhsa_fp16_overflow 0
		.amdhsa_tg_split 0
		.amdhsa_exception_fp_ieee_invalid_op 0
		.amdhsa_exception_fp_denorm_src 0
		.amdhsa_exception_fp_ieee_div_zero 0
		.amdhsa_exception_fp_ieee_overflow 0
		.amdhsa_exception_fp_ieee_underflow 0
		.amdhsa_exception_fp_ieee_inexact 0
		.amdhsa_exception_int_div_zero 0
	.end_amdhsa_kernel
	.section	.text._Z16kInt8VectorQuantI6__halfLi1024ELi1EEvPT_PaPffii,"axG",@progbits,_Z16kInt8VectorQuantI6__halfLi1024ELi1EEvPT_PaPffii,comdat
.Lfunc_end5:
	.size	_Z16kInt8VectorQuantI6__halfLi1024ELi1EEvPT_PaPffii, .Lfunc_end5-_Z16kInt8VectorQuantI6__halfLi1024ELi1EEvPT_PaPffii
                                        ; -- End function
	.section	.AMDGPU.csdata,"",@progbits
; Kernel info:
; codeLenInByte = 2072
; NumSgprs: 33
; NumVgprs: 30
; NumAgprs: 0
; TotalNumVgprs: 30
; ScratchSize: 0
; MemoryBound: 0
; FloatMode: 240
; IeeeMode: 1
; LDSByteSize: 68 bytes/workgroup (compile time only)
; SGPRBlocks: 4
; VGPRBlocks: 3
; NumSGPRsForWavesPerEU: 33
; NumVGPRsForWavesPerEU: 30
; AccumOffset: 32
; Occupancy: 8
; WaveLimiterHint : 0
; COMPUTE_PGM_RSRC2:SCRATCH_EN: 0
; COMPUTE_PGM_RSRC2:USER_SGPR: 2
; COMPUTE_PGM_RSRC2:TRAP_HANDLER: 0
; COMPUTE_PGM_RSRC2:TGID_X_EN: 1
; COMPUTE_PGM_RSRC2:TGID_Y_EN: 0
; COMPUTE_PGM_RSRC2:TGID_Z_EN: 0
; COMPUTE_PGM_RSRC2:TIDIG_COMP_CNT: 0
; COMPUTE_PGM_RSRC3_GFX90A:ACCUM_OFFSET: 7
; COMPUTE_PGM_RSRC3_GFX90A:TG_SPLIT: 0
	.section	.text._Z5kfuncIfLi0EEvPT_S1_S0_l,"axG",@progbits,_Z5kfuncIfLi0EEvPT_S1_S0_l,comdat
